;; amdgpu-corpus repo=ROCm/rocm-libraries kind=harvested arch=n/a opt=n/a

/******************************************/
/* Begin Kernel                           */
/******************************************/
.amdgcn_target "amdgcn-amd-amdhsa--gfx942"
.text
.protected Custom_Cijk_Ailk_Bljk_F8NH_HHS_BH_Bias_AS_SAB_SAV_MT128x16x128_MI16x16x1_shortname2
.globl Custom_Cijk_Ailk_Bljk_F8NH_HHS_BH_Bias_AS_SAB_SAV_MT128x16x128_MI16x16x1_shortname2
.p2align 8
.type Custom_Cijk_Ailk_Bljk_F8NH_HHS_BH_Bias_AS_SAB_SAV_MT128x16x128_MI16x16x1_shortname2,@function
.section .rodata,#alloc
.p2align 6
.amdhsa_kernel Custom_Cijk_Ailk_Bljk_F8NH_HHS_BH_Bias_AS_SAB_SAV_MT128x16x128_MI16x16x1_shortname2
  .amdhsa_user_sgpr_kernarg_segment_ptr 1
  .amdhsa_accum_offset 152 // accvgpr offset
  .amdhsa_next_free_vgpr 160 // vgprs
  .amdhsa_next_free_sgpr 102 // sgprs
  .amdhsa_group_segment_fixed_size 4608 // lds bytes
  .amdhsa_private_segment_fixed_size 0
  .amdhsa_system_sgpr_workgroup_id_x 1
  .amdhsa_system_sgpr_workgroup_id_y 1
  .amdhsa_system_sgpr_workgroup_id_z 1
  .amdhsa_system_vgpr_workitem_id 0
  .amdhsa_float_denorm_mode_32 3
  .amdhsa_float_denorm_mode_16_64 3
.amdhsa_user_sgpr_count 13
  .amdhsa_user_sgpr_kernarg_preload_length 11
  .amdhsa_user_sgpr_kernarg_preload_offset 0
.end_amdhsa_kernel
.text
/* Num VGPR   =152 */
/* Num AccVGPR=8 */
/* Num SGPR   =102 */

/******************************************/
/* Optimizations and Config:              */
/******************************************/
/* ThreadTile= 8 x 1 */
/* SubGroup= 16 x 16 */
/* VectorWidthA=2 */
/* VectorWidthB=1 */
/* GlobalReadVectorWidthA=2, GlobalReadVectorWidthB=8 */
/* DirectToLdsA=False */
/* DirectToLdsB=False */
/* UseSgprForGRO=1 */
.amdgpu_metadata
---
custom.config:
   ProblemType:
      OperationType: GEMM
      DataTypeA: f8n
      DataTypeB: h
      UseScaleAB: "Scalar"
      DataType: h
      DestDataType: h
      ComputeDataType: s
      HighPrecisionAccumulate: True
      TransposeA: False
      TransposeB: False
      UseBeta: True
      Batched: True
      UseBias: 1
      Activation: True
      UseScaleAlphaVec: 1
   1LDSBuffer: 1
   DepthU: 128
   StaggerU: 4
   WorkGroupMapping: 1
   WaveSeparateGlobalReadA: 0
   WaveSeparateGlobalReadB: 0
   GlobalReadVectorWidthA: 2
   GlobalReadVectorWidthB: 8
   AssertFree0ElementMultiple: 2
   AssertSummationElementMultiple: 1
   GlobalSplitU: 19
   GlobalSplitUAlgorithm: MultipleBuffer
   InternalSupportParams: {KernArgsVersion: 0, SupportCustomWGM: True, SupportUserGSU: True, SupportCustomStaggerU: True, UseUniversalArgs: False}
   PreloadKernArgs: 1
   NoReject: 1
amdhsa.version:
  - 1
  - 1
amdhsa.kernels:
  - .name: Custom_Cijk_Ailk_Bljk_F8NH_HHS_BH_Bias_AS_SAB_SAV_MT128x16x128_MI16x16x1_shortname2
    .symbol: 'Custom_Cijk_Ailk_Bljk_F8NH_HHS_BH_Bias_AS_SAB_SAV_MT128x16x128_MI16x16x1_shortname2.kd'
    .language:                   OpenCL C
    .language_version:
      - 2
      - 0
    .args:
      - .name:            SizesFree0
        .size:            4
        .offset:          0
        .value_kind:      by_value
        .value_type:      u32
      - .name:            SizesFree1
        .size:            4
        .offset:          4
        .value_kind:      by_value
        .value_type:      u32
      - .name:            SizesFree2
        .size:            4
        .offset:          8
        .value_kind:      by_value
        .value_type:      u32
      - .name:            SizesSum0
        .size:            4
        .offset:          12
        .value_kind:      by_value
        .value_type:      u32
      - .name:            D
        .size:            8
        .offset:          16
        .value_kind:      global_buffer
        .value_type:      f16
        .address_space:   generic
      - .name:            C
        .size:            8
        .offset:          24
        .value_kind:      global_buffer
        .value_type:      f16
        .address_space:   generic
      - .name:            A
        .size:            8
        .offset:          32
        .value_kind:      global_buffer
        .value_type:      f16
        .address_space:   generic
      - .name:            B
        .size:            8
        .offset:          40
        .value_kind:      global_buffer
        .value_type:      f16
        .address_space:   generic
      - .name:            strideD0
        .size:            4
        .offset:          48
        .value_kind:      by_value
        .value_type:      u32
      - .name:            strideD1
        .size:            4
        .offset:          52
        .value_kind:      by_value
        .value_type:      u32
      - .name:            strideC0
        .size:            4
        .offset:          56
        .value_kind:      by_value
        .value_type:      u32
      - .name:            strideC1
        .size:            4
        .offset:          60
        .value_kind:      by_value
        .value_type:      u32
      - .name:            strideA0
        .size:            4
        .offset:          64
        .value_kind:      by_value
        .value_type:      u32
      - .name:            strideA1
        .size:            4
        .offset:          68
        .value_kind:      by_value
        .value_type:      u32
      - .name:            strideB0
        .size:            4
        .offset:          72
        .value_kind:      by_value
        .value_type:      u32
      - .name:            strideB1
        .size:            4
        .offset:          76
        .value_kind:      by_value
        .value_type:      u32
      - .name:            alpha
        .size:            4
        .offset:          80
        .value_kind:      by_value
        .value_type:      f32
      - .name:            beta
        .size:            4
        .offset:          84
        .value_kind:      by_value
        .value_type:      f32
      - .name:            internalArgs
        .size:            4
        .offset:          88
        .value_kind:      by_value
        .value_type:      u32
      - .name:            AddressScaleA
        .size:            8
        .offset:          92
        .value_kind:      global_buffer
        .value_type:      f32
        .address_space:   generic
      - .name:            AddressScaleB
        .size:            8
        .offset:          100
        .value_kind:      global_buffer
        .value_type:      f32
        .address_space:   generic
      - .name:            AddressScaleAlphaVec
        .size:            8
        .offset:          108
        .value_kind:      global_buffer
        .value_type:      f32
        .address_space:   generic
      - .name:            bias
        .size:            8
        .offset:          116
        .value_kind:      global_buffer
        .value_type:      void
        .address_space:   generic
      - .name:            biasType
        .size:            4
        .offset:          124
        .value_kind:      by_value
        .value_type:      u32
      - .name:            StrideBias
        .size:            4
        .offset:          128
        .value_kind:      by_value
        .value_type:      u32
      - .name:            activationAlpha
        .size:            4
        .offset:          132
        .value_kind:      by_value
        .value_type:      f32
      - .name:            activationBeta
        .size:            4
        .offset:          136
        .value_kind:      by_value
        .value_type:      f32
      - .name:            activationType
        .size:            4
        .offset:          140
        .value_kind:      by_value
        .value_type:      u32
    .group_segment_fixed_size:   4608
    .kernarg_segment_align:      8
    .kernarg_segment_size:       144
    .max_flat_workgroup_size:    256
    .private_segment_fixed_size: 0
    .sgpr_count:                 102
    .sgpr_spill_count:           0
    .vgpr_count:                 120
    .vgpr_spill_count:           0
    .wavefront_size:             64
...
.end_amdgpu_metadata
Custom_Cijk_Ailk_Bljk_F8NH_HHS_BH_Bias_AS_SAB_SAV_MT128x16x128_MI16x16x1_shortname2:
.long 0xC0120600, 0x00000000
.long 0xC00A0A00, 0x00000040
	;; [unrolled: 1-line block ×4, first 2 shown]
.long 0xBF82004A
.long 0xBF800000
	;; [unrolled: 1-line block ×56, first 2 shown]
.long 0xC00208C0, 0x0000002C
.long 0xC00E0900, 0x00000030
	;; [unrolled: 1-line block ×4, first 2 shown]
.long 0xBE980002
.long 0xBE990003
	;; [unrolled: 1-line block ×14, first 2 shown]
.long 0xBEC100FF, 0x05040100
.long 0xBEC200FF, 0x07060302
	;; [unrolled: 1-line block ×3, first 2 shown]
.long 0x7EBC0300
.long 0x2602BCBF
	;; [unrolled: 1-line block ×29, first 2 shown]
.long 0xD2850000, 0x00020062
.long 0xD1FE0034, 0x02060300
.long 0x20046888
.long 0x24040485
.long 0x68686902
.long 0x2002BC86
.long 0x2600BCBF
.long 0x24000081
.long 0x7E080301
.long 0x2004BC84
.long 0x2606BC8F
.long 0x24060683
.long 0x7E0A0303
.long 0x106A04FF, 0x00000080
.long 0xD1FE0035, 0x02066B05
.long 0x200C6A88
.long 0x240C0C85
	;; [unrolled: 1-line block ×4, first 2 shown]
.long 0x8609FF2E, 0x0000FF00
.long 0x8F098809
.long 0x862FFF2E, 0xFFFF0000
.long 0x8F2F902F
.long 0x862EFF2E, 0x000000FF
.long 0x7E1002FF, 0x00000080
.long 0x7E0E0218
.long 0x7E0C0D08
	;; [unrolled: 1-line block ×8, first 2 shown]
.long 0xD0CD006A, 0x00010109
.long 0xD11C6A06, 0x01A90106
.long 0x7E100290
.long 0x7E0E0219
	;; [unrolled: 1-line block ×10, first 2 shown]
.long 0xD0CD006A, 0x00010109
.long 0xD11C6A06, 0x01A90106
.long 0xBF800000
.long 0x7E2A0506
	;; [unrolled: 1-line block ×6, first 2 shown]
.long 0xD042006A, 0x0001002C
.long 0xBF860001
.long 0xBE9B0080
	;; [unrolled: 1-line block ×9, first 2 shown]
.long 0xD1080007, 0x00005D06
.long 0x6A0E0E03
.long 0xD0DA007E, 0x00005D07
.long 0x680C0C81
.long 0x7E0E0280
	;; [unrolled: 1-line block ×18, first 2 shown]
.long 0xD1080007, 0x00001306
.long 0x6A0E0E03
.long 0xD0DA007E, 0x00001307
.long 0x680C0C81
.long 0xBEFE01C1
	;; [unrolled: 1-line block ×12, first 2 shown]
.long 0xD1080007, 0x00001306
.long 0x6A0E0E15
.long 0xD0DA007E, 0x00001307
.long 0x680C0C81
.long 0xBEFE01C1
	;; [unrolled: 1-line block ×14, first 2 shown]
.long 0xD1080007, 0x0000C506
.long 0x6A0E0E65
.long 0xD0DA007E, 0x0000C507
.long 0x680C0C81
.long 0x7E0E0280
	;; [unrolled: 1-line block ×11, first 2 shown]
.long 0xD2850001, 0x00020288
.long 0xD2850001, 0x00020228
.long 0x68000101
.long 0x2002BC86
	;; [unrolled: 1-line block ×22, first 2 shown]
.long 0x9253FF28, 0x00000041
.long 0x9254FF28, 0x00000042
	;; [unrolled: 1-line block ×16, first 2 shown]
.long 0x326E0D03
.long 0x686E6E88
	;; [unrolled: 1-line block ×3, first 2 shown]
.long 0x9665FF02, 0x00000080
.long 0x9264FF02, 0x00000080
	;; [unrolled: 1-line block ×4, first 2 shown]
.long 0x96632862
.long 0x92622862
	;; [unrolled: 1-line block ×28, first 2 shown]
.long 0xBEB300FF, 0x00020000
.long 0x96659003
.long 0x92649003
	;; [unrolled: 1-line block ×4, first 2 shown]
.long 0x966306FF, 0x00000080
.long 0x926206FF, 0x00000080
.long 0x80646264
.long 0x82656365
	;; [unrolled: 1-line block ×28, first 2 shown]
.long 0xBEB700FF, 0x00020000
.long 0x9262FF2E, 0x00000080
.long 0x923F2862
.long 0x9262FF2E, 0x00000100
.long 0xBEC00062
.long 0x8F0A871B
	;; [unrolled: 1-line block ×9, first 2 shown]
.long 0xD1080001, 0x00005D00
.long 0x6A02020A
.long 0xD0DA007E, 0x00005D01
.long 0x68000081
.long 0x7E020280
	;; [unrolled: 1-line block ×9, first 2 shown]
.long 0x8664FF2F, 0x00001F00
.long 0x8F648864
.long 0x8665FF2F, 0x0000E000
.long 0x862FFF2F, 0x000000FF
.long 0xBEE2002F
.long 0x8E636462
.long 0xBF09630B
.long 0xBF850002
.long 0x8F628162
.long 0xBF82FFFB
.long 0x80E38162
.long 0xBF098162
.long 0x853A8063
.long 0xBF068065
.long 0xBF850002
.long 0xBEE20002
.long 0xBF820016
.long 0xBF06FF65, 0x00002000
.long 0xBF850002
.long 0xBEE20003
.long 0xBF820011
.long 0xBF06FF65, 0x00004000
.long 0xBF850002
.long 0xBEE200C1
.long 0xBF82000C
.long 0xBF06FF65, 0x00006000
.long 0xBF850004
.long 0x92630314
.long 0x80626362
.long 0x80620262
.long 0xBF820005
.long 0xBF06FF65, 0x00008000
.long 0xBF850002
.long 0xBEE200C1
	;; [unrolled: 1-line block ×32, first 2 shown]
.long 0xE05C1000, 0x800D5837
.long 0xE0901000, 0x800C3836
	;; [unrolled: 1-line block ×33, first 2 shown]
.long 0x8064810A
.long 0xBF06643A
	;; [unrolled: 1-line block ×22, first 2 shown]
.long 0xBE8E00FF, 0x80000000
.long 0xBE8F00FF, 0x00020000
.long 0xBE90001E
.long 0xBE91001F
.long 0xBE9200FF, 0x80000000
.long 0xBE9300FF, 0x00020000
.long 0x92640390
.long 0x96632664
	;; [unrolled: 1-line block ×40, first 2 shown]
.long 0xD3D94000, 0x18000080
.long 0xD3D94001, 0x18000080
	;; [unrolled: 1-line block ×8, first 2 shown]
.long 0xBF06800A
.long 0xBF840006
.long 0xBEE21C00
.long 0x816484FF, 0x00001CDC
.long 0x80626462
.long 0x82638063
	;; [unrolled: 1-line block ×4, first 2 shown]
.long 0xD9BE0000, 0x00005835
.long 0xBF06810A
.long 0xBF850042
.long 0xE05C1000, 0x800D2037
.long 0xE0901000, 0x800C7836
	;; [unrolled: 1-line block ×33, first 2 shown]
.long 0xBF8CC07F
.long 0xBF8A0000
.long 0xD9FE0000, 0x24000034
.long 0x7EB8ACF9, 0x00040638
	;; [unrolled: 1-line block ×31, first 2 shown]
.long 0xBF06810A
.long 0xBF8505E3
	;; [unrolled: 1-line block ×4, first 2 shown]
.long 0xD9FE0040, 0x28000034
.long 0xBF8CC17F
.long 0xD3CD8000, 0x04020124
.long 0xBF063A0A
.long 0x8562403D
	;; [unrolled: 1-line block ×8, first 2 shown]
.long 0xD3CD8004, 0x04120524
.long 0x8536C138
.long 0xBF063A0A
	;; [unrolled: 1-line block ×8, first 2 shown]
.long 0xD3CD8000, 0x04020926
.long 0xBF068017
.long 0x8532C116
.long 0xBF8CCF76
.long 0xE05C1000, 0x800D5837
.long 0x7EB8ACF9, 0x00040642
	;; [unrolled: 1-line block ×6, first 2 shown]
.long 0xBF8CCF76
.long 0xE0901000, 0x800C3836
.long 0x7EB8ACF9, 0x00040643
	;; [unrolled: 1-line block ×4, first 2 shown]
.long 0xBF8CCF76
.long 0xE0901000, 0x430C3936
.long 0x7EB8ACF9, 0x00040644
	;; [unrolled: 1-line block ×4, first 2 shown]
.long 0xBF8CC17F
.long 0xD3CD8000, 0x04021128
.long 0xBF8CCF76
.long 0xE0901000, 0x440C3A36
.long 0x7EB8ACF9, 0x00040645
	;; [unrolled: 1-line block ×4, first 2 shown]
.long 0xBF8CCF76
.long 0xE0901000, 0x450C3B36
.long 0x7EB8ACF9, 0x00040646
	;; [unrolled: 1-line block ×6, first 2 shown]
.long 0xBF8CCF76
.long 0xE0901000, 0x460C3C36
.long 0x7EB8ACF9, 0x00040647
	;; [unrolled: 1-line block ×4, first 2 shown]
.long 0xBF8CCF76
.long 0xE0901000, 0x470C3D36
.long 0x7EB8ACF9, 0x00040648
.long 0x7E2014F9, 0x0006145C
.long 0x7E2414F9, 0x0006145D
.long 0xD3CD8000, 0x0402192A
.long 0xBF8CCF76
.long 0xE0901000, 0x480C3E36
.long 0x7EB8ACF9, 0x00040649
	;; [unrolled: 1-line block ×4, first 2 shown]
.long 0xBF8CCF76
.long 0xE0901000, 0x490C3F36
.long 0x7EB8ACF9, 0x0004064A
	;; [unrolled: 1-line block ×5, first 2 shown]
.long 0xBF8CCF76
.long 0xE0901000, 0x4A0C4036
.long 0x7EB8ACF9, 0x0004064B
	;; [unrolled: 1-line block ×4, first 2 shown]
.long 0xBF8CCF76
.long 0xE0901000, 0x4B0C4136
.long 0x7EB8ACF9, 0x0004064C
	;; [unrolled: 1-line block ×4, first 2 shown]
.long 0xBF8CC17F
.long 0xD3CD8000, 0x0402212C
.long 0xBF8CCF76
.long 0xE0901000, 0x4C0C4236
.long 0x7EB8ACF9, 0x0004064D
.long 0x7E2814F9, 0x0006155C
.long 0x7E2C14F9, 0x0006155D
.long 0xBF8CCF76
.long 0xE0901000, 0x4D0C4336
.long 0x7EB8ACF9, 0x0004064E
	;; [unrolled: 1-line block ×5, first 2 shown]
.long 0xBF8CCF76
.long 0xE0901000, 0x4E0C4436
.long 0x7EB8ACF9, 0x0004064F
	;; [unrolled: 1-line block ×4, first 2 shown]
.long 0xBF8CCF76
.long 0xE0901000, 0x4F0C4536
.long 0x7EB8ACF9, 0x00040650
	;; [unrolled: 1-line block ×4, first 2 shown]
.long 0xBF8CC07F
.long 0xBF8A0000
.long 0xD3CD8000, 0x0402292E
.long 0xBF8CCF76
.long 0xE0901000, 0x500C4636
.long 0x7EB8ACF9, 0x00040651
.long 0x7E3014F9, 0x0006155C
.long 0x7E3414F9, 0x0006155D
.long 0xBF8CCF76
.long 0xE0901000, 0x510C4736
.long 0x7EB8ACF9, 0x00040652
.long 0x7E3214F9, 0x0006145C
.long 0x7E3614F9, 0x0006145D
.long 0xD3CD8004, 0x04122D2E
.long 0xBF8CCF76
.long 0xE0901000, 0x520C4836
.long 0x7EB8ACF9, 0x00040653
.long 0x7E3214F9, 0x0006155C
.long 0x7E3614F9, 0x0006155D
.long 0xBF8CCF76
.long 0xE0901000, 0x530C4936
.long 0x7EB8ACF9, 0x00040654
.long 0x7E3814F9, 0x0006145C
.long 0x7E3C14F9, 0x0006145D
	;; [unrolled: 11-line block ×3, first 2 shown]
.long 0xD3CD8004, 0x04123530
.long 0xBF8CCF76
.long 0xE0901000, 0x560C4C36
.long 0x7EB8ACF9, 0x00040657
	;; [unrolled: 1-line block ×4, first 2 shown]
.long 0xBF8CCF76
.long 0xE0901000, 0x570C4D36
.long 0xD9BE0000, 0x00002035
.long 0xBF8CCF76
.long 0xE0901000, 0x580C4E36
.long 0x7EB8ACF9, 0x00040678
	;; [unrolled: 1-line block ×4, first 2 shown]
.long 0xBF8CC07F
.long 0xBF8A0000
.long 0xD3CD8000, 0x04023932
.long 0xD9FE0000, 0x24000034
.long 0xBF8CCF76
.long 0xE0901000, 0x590C4F36
.long 0x7EB8ACF9, 0x00040679
	;; [unrolled: 1-line block ×4, first 2 shown]
.long 0xBF8CCF76
.long 0xE0901000, 0x5A0C5036
.long 0x7EB8ACF9, 0x0004067A
	;; [unrolled: 1-line block ×5, first 2 shown]
.long 0xBF8CCF76
.long 0xE0901000, 0x5B0C5136
.long 0x7EB8ACF9, 0x0004067B
.long 0x7E0214F9, 0x0006155C
.long 0x7E0614F9, 0x0006155D
.long 0xBF8CCF76
.long 0xE0901000, 0x5C0C5236
.long 0x7EB8ACF9, 0x0004067C
.long 0x7E0814F9, 0x0006145C
.long 0x7E0C14F9, 0x0006145D
	;; [unrolled: 5-line block ×7, first 2 shown]
.long 0x808A810A
.long 0xBF00820A
	;; [unrolled: 1-line block ×3, first 2 shown]
.long 0xD9FE0040, 0x28000034
.long 0xBF8CC17F
.long 0xD3CD8000, 0x04020124
.long 0xBF063A0A
.long 0x8562403D
	;; [unrolled: 1-line block ×8, first 2 shown]
.long 0xD3CD8004, 0x04120524
.long 0x8536C138
.long 0xBF063A0A
	;; [unrolled: 1-line block ×8, first 2 shown]
.long 0xD3CD8000, 0x04020926
.long 0xBF068017
.long 0x8532C116
	;; [unrolled: 1-line block ×3, first 2 shown]
.long 0xE05C1000, 0x800D2037
.long 0x7EB8ACF9, 0x00040682
	;; [unrolled: 1-line block ×6, first 2 shown]
.long 0xBF8CCF76
.long 0xE0901000, 0x800C7836
.long 0x7EB8ACF9, 0x00040683
	;; [unrolled: 1-line block ×4, first 2 shown]
.long 0xBF8CCF76
.long 0xE0901000, 0x430C7936
.long 0x7EB8ACF9, 0x00040684
	;; [unrolled: 1-line block ×4, first 2 shown]
.long 0xBF8CC17F
.long 0xD3CD8000, 0x04021128
.long 0xBF8CCF76
.long 0xE0901000, 0x440C7A36
.long 0x7EB8ACF9, 0x00040685
	;; [unrolled: 1-line block ×4, first 2 shown]
.long 0xBF8CCF76
.long 0xE0901000, 0x450C7B36
.long 0x7EB8ACF9, 0x00040686
.long 0x7E1A14F9, 0x0006145C
.long 0x7E1E14F9, 0x0006145D
.long 0xD9FE00C0, 0x30000034
.long 0xD3CD8004, 0x04121528
.long 0xBF8CCF76
.long 0xE0901000, 0x460C7C36
.long 0x7EB8ACF9, 0x00040687
	;; [unrolled: 1-line block ×4, first 2 shown]
.long 0xBF8CCF76
.long 0xE0901000, 0x470C7D36
.long 0x7EB8ACF9, 0x00040688
	;; [unrolled: 1-line block ×5, first 2 shown]
.long 0xBF8CCF76
.long 0xE0901000, 0x480C7E36
.long 0x7EB8ACF9, 0x00040689
	;; [unrolled: 1-line block ×4, first 2 shown]
.long 0xBF8CCF76
.long 0xE0901000, 0x490C7F36
.long 0x7EB8ACF9, 0x0004068A
	;; [unrolled: 1-line block ×5, first 2 shown]
.long 0xBF8CCF76
.long 0xE0901000, 0x4A0C8036
.long 0x7EB8ACF9, 0x0004068B
	;; [unrolled: 1-line block ×4, first 2 shown]
.long 0xBF8CCF76
.long 0xE0901000, 0x4B0C8136
.long 0x7EB8ACF9, 0x0004068C
	;; [unrolled: 1-line block ×4, first 2 shown]
.long 0xBF8CC17F
.long 0xD3CD8000, 0x0402212C
.long 0xBF8CCF76
.long 0xE0901000, 0x4C0C8236
.long 0x7EB8ACF9, 0x0004068D
	;; [unrolled: 1-line block ×4, first 2 shown]
.long 0xBF8CCF76
.long 0xE0901000, 0x4D0C8336
.long 0x7EB8ACF9, 0x0004068E
	;; [unrolled: 1-line block ×5, first 2 shown]
.long 0xBF8CCF76
.long 0xE0901000, 0x4E0C8436
.long 0x7EB8ACF9, 0x0004068F
	;; [unrolled: 1-line block ×4, first 2 shown]
.long 0xBF8CCF76
.long 0xE0901000, 0x4F0C8536
.long 0x7EB8ACF9, 0x00040690
	;; [unrolled: 1-line block ×4, first 2 shown]
.long 0xBF8CC07F
.long 0xBF8A0000
.long 0xD3CD8000, 0x0402292E
.long 0xBF8CCF76
.long 0xE0901000, 0x500C8636
.long 0x7EB8ACF9, 0x00040691
.long 0x7E3014F9, 0x0006155C
.long 0x7E3414F9, 0x0006155D
.long 0xBF8CCF76
.long 0xE0901000, 0x510C8736
.long 0x7EB8ACF9, 0x00040692
.long 0x7E3214F9, 0x0006145C
.long 0x7E3614F9, 0x0006145D
.long 0xD3CD8004, 0x04122D2E
.long 0xBF8CCF76
.long 0xE0901000, 0x520C8836
.long 0x7EB8ACF9, 0x00040693
.long 0x7E3214F9, 0x0006155C
.long 0x7E3614F9, 0x0006155D
.long 0xBF8CCF76
.long 0xE0901000, 0x530C8936
.long 0x7EB8ACF9, 0x00040694
.long 0x7E3814F9, 0x0006145C
.long 0x7E3C14F9, 0x0006145D
	;; [unrolled: 11-line block ×3, first 2 shown]
.long 0xD3CD8004, 0x04123530
.long 0xBF8CCF76
.long 0xE0901000, 0x560C8C36
.long 0x7EB8ACF9, 0x00040697
	;; [unrolled: 1-line block ×4, first 2 shown]
.long 0xBF8CCF76
.long 0xE0901000, 0x570C8D36
.long 0xD9BE0000, 0x00005835
.long 0xBF8CCF76
.long 0xE0901000, 0x580C8E36
.long 0x7EB8ACF9, 0x00040638
	;; [unrolled: 1-line block ×4, first 2 shown]
.long 0xBF8CC07F
.long 0xBF8A0000
.long 0xD3CD8000, 0x04023932
.long 0xD9FE0000, 0x24000034
.long 0xBF8CCF76
.long 0xE0901000, 0x590C8F36
.long 0x7EB8ACF9, 0x00040639
	;; [unrolled: 1-line block ×4, first 2 shown]
.long 0xBF8CCF76
.long 0xE0901000, 0x5A0C9036
.long 0x7EB8ACF9, 0x0004063A
	;; [unrolled: 1-line block ×5, first 2 shown]
.long 0xBF8CCF76
.long 0xE0901000, 0x5B0C9136
.long 0x7EB8ACF9, 0x0004063B
.long 0x7E0214F9, 0x0006155C
.long 0x7E0614F9, 0x0006155D
.long 0xBF8CCF76
.long 0xE0901000, 0x5C0C9236
.long 0x7EB8ACF9, 0x0004063C
.long 0x7E0814F9, 0x0006145C
.long 0x7E0C14F9, 0x0006145D
	;; [unrolled: 5-line block ×7, first 2 shown]
.long 0x808A810A
.long 0xBF00820A
	;; [unrolled: 1-line block ×3, first 2 shown]
.long 0xD9FE0040, 0x28000034
.long 0xBF8CC17F
.long 0xD3CD8000, 0x04020124
.long 0xBF063A0A
.long 0x85623F3B
	;; [unrolled: 1-line block ×8, first 2 shown]
.long 0xD3CD8004, 0x04120524
.long 0x8532C116
.long 0xBF063A0A
	;; [unrolled: 1-line block ×5, first 2 shown]
.long 0x7EB8ACF9, 0x00040642
.long 0x7E1214F9, 0x0006145C
	;; [unrolled: 1-line block ×5, first 2 shown]
.long 0x80346234
.long 0x82356335
	;; [unrolled: 1-line block ×3, first 2 shown]
.long 0x7EB8ACF9, 0x00040643
.long 0x7E1214F9, 0x0006155C
.long 0x7E1614F9, 0x0006155D
.long 0xD3CD8004, 0x04120D26
.long 0x80B86238
.long 0x82B96339
	;; [unrolled: 1-line block ×5, first 2 shown]
.long 0x7EB8ACF9, 0x00040644
.long 0x7E1814F9, 0x0006145C
	;; [unrolled: 1-line block ×3, first 2 shown]
.long 0xBF8CC17F
.long 0xD3CD8000, 0x04021128
.long 0xD9FE00C0, 0x30000034
.long 0xBF8CCF73
.long 0x7EB8ACF9, 0x00040645
.long 0x7E1814F9, 0x0006155C
.long 0x7E1C14F9, 0x0006155D
.long 0xBF8CCF72
.long 0x7EB8ACF9, 0x00040646
.long 0x7E1A14F9, 0x0006145C
.long 0x7E1E14F9, 0x0006145D
.long 0xD3CD8004, 0x04121528
.long 0xBF8CCF71
.long 0x7EB8ACF9, 0x00040647
.long 0x7E1A14F9, 0x0006155C
.long 0x7E1E14F9, 0x0006155D
.long 0xBF8CCF70
.long 0x7EB8ACF9, 0x00040648
.long 0x7E2014F9, 0x0006145C
	;; [unrolled: 9-line block ×3, first 2 shown]
.long 0x7E2614F9, 0x0006145D
.long 0xBF8CC17F
.long 0xD3CD8004, 0x04121D2A
.long 0xBF8C8F7D
.long 0x7EB8ACF9, 0x0004064B
.long 0x7E2214F9, 0x0006155C
.long 0x7E2614F9, 0x0006155D
.long 0xBF8C8F7C
.long 0x7EB8ACF9, 0x0004064C
.long 0x7E2814F9, 0x0006145C
.long 0x7E2C14F9, 0x0006145D
.long 0xD3CD8000, 0x0402212C
.long 0xBF8C8F7B
.long 0x7EB8ACF9, 0x0004064D
.long 0x7E2814F9, 0x0006155C
.long 0x7E2C14F9, 0x0006155D
.long 0xBF8C8F7A
.long 0x7EB8ACF9, 0x0004064E
.long 0x7E2A14F9, 0x0006145C
.long 0x7E2E14F9, 0x0006145D
	;; [unrolled: 9-line block ×3, first 2 shown]
.long 0xBF8CC07F
.long 0xBF8A0000
.long 0xD3CD8000, 0x0402292E
.long 0xBF8C8F77
.long 0x7EB8ACF9, 0x00040651
.long 0x7E3014F9, 0x0006155C
.long 0x7E3414F9, 0x0006155D
.long 0xBF8C8F76
.long 0x7EB8ACF9, 0x00040652
.long 0x7E3214F9, 0x0006145C
.long 0x7E3614F9, 0x0006145D
.long 0xD3CD8004, 0x04122D2E
.long 0xBF8C8F75
.long 0x7EB8ACF9, 0x00040653
.long 0x7E3214F9, 0x0006155C
.long 0x7E3614F9, 0x0006155D
.long 0xBF8C8F74
.long 0x7EB8ACF9, 0x00040654
.long 0x7E3814F9, 0x0006145C
.long 0x7E3C14F9, 0x0006145D
	;; [unrolled: 9-line block ×3, first 2 shown]
.long 0xD3CD8004, 0x04123530
.long 0xBF8C8F71
.long 0x7EB8ACF9, 0x00040657
.long 0x7E3A14F9, 0x0006155C
	;; [unrolled: 1-line block ×3, first 2 shown]
.long 0xBF8C8F70
.long 0xD9BE0000, 0x00002035
.long 0xBF8C4F7F
.long 0x7EB8ACF9, 0x00040678
.long 0x7E0014F9, 0x0006145C
	;; [unrolled: 1-line block ×3, first 2 shown]
.long 0xBF8CC07F
.long 0xBF8A0000
.long 0xD3CD8000, 0x04023932
.long 0xD9FE0000, 0x24000034
.long 0xBF8C4F7E
.long 0x7EB8ACF9, 0x00040679
.long 0x7E0014F9, 0x0006155C
	;; [unrolled: 1-line block ×4, first 2 shown]
.long 0xBF8C4F7D
.long 0x7EB8ACF9, 0x0004067A
.long 0x7E0214F9, 0x0006145C
.long 0x7E0614F9, 0x0006145D
.long 0xBF8C4F7C
.long 0x7EB8ACF9, 0x0004067B
.long 0x7E0214F9, 0x0006155C
.long 0x7E0614F9, 0x0006155D
	;; [unrolled: 4-line block ×9, first 2 shown]
.long 0xBF8CC07F
.long 0xD3CD8000, 0x04020124
.long 0xD9FE0040, 0x28000034
.long 0xBF8C4F74
.long 0x7EB8ACF9, 0x00040683
.long 0x7E1214F9, 0x0006155C
	;; [unrolled: 1-line block ×6, first 2 shown]
.long 0xBF8C4F73
.long 0x7EB8ACF9, 0x00040684
.long 0x7E1814F9, 0x0006145C
.long 0x7E1C14F9, 0x0006145D
.long 0xD3CD8004, 0x04120D26
.long 0xBF8C4F72
.long 0x7EB8ACF9, 0x00040685
.long 0x7E1814F9, 0x0006155C
	;; [unrolled: 1-line block ×3, first 2 shown]
.long 0xBF8CC17F
.long 0xD3CD8000, 0x04021128
.long 0xD9FE00C0, 0x30000034
.long 0xBF8C4F71
.long 0x7EB8ACF9, 0x00040686
.long 0x7E1A14F9, 0x0006145C
.long 0x7E1E14F9, 0x0006145D
.long 0xBF8C4F70
.long 0x7EB8ACF9, 0x00040687
.long 0x7E1A14F9, 0x0006155C
.long 0x7E1E14F9, 0x0006155D
.long 0xD3CD8004, 0x04121528
.long 0xBF8C0F7F
.long 0x7EB8ACF9, 0x00040688
.long 0x7E2014F9, 0x0006145C
.long 0x7E2414F9, 0x0006145D
.long 0xBF8C0F7E
.long 0x7EB8ACF9, 0x00040689
.long 0x7E2014F9, 0x0006155C
	;; [unrolled: 9-line block ×4, first 2 shown]
.long 0x7E2C14F9, 0x0006155D
.long 0xBF8CC17F
.long 0xD3CD8000, 0x0402212C
.long 0xBF8C0F79
.long 0x7EB8ACF9, 0x0004068E
.long 0x7E2A14F9, 0x0006145C
	;; [unrolled: 1-line block ×3, first 2 shown]
.long 0xBF8C0F78
.long 0x7EB8ACF9, 0x0004068F
.long 0x7E2A14F9, 0x0006155C
	;; [unrolled: 1-line block ×4, first 2 shown]
.long 0xBF8C0F77
.long 0x7EB8ACF9, 0x00040690
.long 0x7E3014F9, 0x0006145C
	;; [unrolled: 1-line block ×3, first 2 shown]
.long 0xBF8C0F76
.long 0x7EB8ACF9, 0x00040691
.long 0x7E3014F9, 0x0006155C
	;; [unrolled: 1-line block ×3, first 2 shown]
.long 0xBF8CC07F
.long 0xBF8A0000
.long 0xD3CD8000, 0x0402292E
.long 0xBF8C0F75
.long 0x7EB8ACF9, 0x00040692
.long 0x7E3214F9, 0x0006145C
.long 0x7E3614F9, 0x0006145D
.long 0xBF8C0F74
.long 0x7EB8ACF9, 0x00040693
.long 0x7E3214F9, 0x0006155C
.long 0x7E3614F9, 0x0006155D
.long 0xD3CD8004, 0x04122D2E
.long 0xBF8C0F73
.long 0x7EB8ACF9, 0x00040694
.long 0x7E3814F9, 0x0006145C
.long 0x7E3C14F9, 0x0006145D
.long 0xBF8C0F72
.long 0x7EB8ACF9, 0x00040695
.long 0x7E3814F9, 0x0006155C
.long 0x7E3C14F9, 0x0006155D
	;; [unrolled: 9-line block ×3, first 2 shown]
.long 0xD3CD8004, 0x04123530
.long 0xD3CD8000, 0x04023932
	;; [unrolled: 1-line block ×3, first 2 shown]
.long 0xBF8201EC
.long 0xD9FE0040, 0x28000034
.long 0xBF8CC17F
.long 0xD3CD8000, 0x04020124
.long 0xBF063A0A
.long 0x85623F3B
	;; [unrolled: 1-line block ×8, first 2 shown]
.long 0xD3CD8004, 0x04120524
.long 0x8532C116
.long 0xBF063A0A
	;; [unrolled: 1-line block ×5, first 2 shown]
.long 0x7EB8ACF9, 0x00040682
.long 0x7E1214F9, 0x0006145C
	;; [unrolled: 1-line block ×5, first 2 shown]
.long 0x80346234
.long 0x82356335
	;; [unrolled: 1-line block ×3, first 2 shown]
.long 0x7EB8ACF9, 0x00040683
.long 0x7E1214F9, 0x0006155C
.long 0x7E1614F9, 0x0006155D
.long 0xD3CD8004, 0x04120D26
.long 0x80B86238
.long 0x82B96339
	;; [unrolled: 1-line block ×5, first 2 shown]
.long 0x7EB8ACF9, 0x00040684
.long 0x7E1814F9, 0x0006145C
	;; [unrolled: 1-line block ×3, first 2 shown]
.long 0xBF8CC17F
.long 0xD3CD8000, 0x04021128
.long 0xD9FE00C0, 0x30000034
.long 0xBF8CCF73
.long 0x7EB8ACF9, 0x00040685
.long 0x7E1814F9, 0x0006155C
	;; [unrolled: 1-line block ×3, first 2 shown]
.long 0xBF8CCF72
.long 0x7EB8ACF9, 0x00040686
.long 0x7E1A14F9, 0x0006145C
	;; [unrolled: 1-line block ×4, first 2 shown]
.long 0xBF8CCF71
.long 0x7EB8ACF9, 0x00040687
.long 0x7E1A14F9, 0x0006155C
	;; [unrolled: 1-line block ×3, first 2 shown]
.long 0xBF8CCF70
.long 0x7EB8ACF9, 0x00040688
.long 0x7E2014F9, 0x0006145C
.long 0x7E2414F9, 0x0006145D
.long 0xBF800001
.long 0xD3CD8000, 0x0402192A
.long 0xBF8C8F7F
.long 0x7EB8ACF9, 0x00040689
.long 0x7E2014F9, 0x0006155C
	;; [unrolled: 1-line block ×3, first 2 shown]
.long 0xBF8C8F7E
.long 0x7EB8ACF9, 0x0004068A
.long 0x7E2214F9, 0x0006145C
	;; [unrolled: 1-line block ×3, first 2 shown]
.long 0xBF8CC17F
.long 0xD3CD8004, 0x04121D2A
.long 0xBF8C8F7D
.long 0x7EB8ACF9, 0x0004068B
.long 0x7E2214F9, 0x0006155C
.long 0x7E2614F9, 0x0006155D
.long 0xBF8C8F7C
.long 0x7EB8ACF9, 0x0004068C
.long 0x7E2814F9, 0x0006145C
.long 0x7E2C14F9, 0x0006145D
.long 0xD3CD8000, 0x0402212C
.long 0xBF8C8F7B
.long 0x7EB8ACF9, 0x0004068D
.long 0x7E2814F9, 0x0006155C
.long 0x7E2C14F9, 0x0006155D
.long 0xBF8C8F7A
.long 0x7EB8ACF9, 0x0004068E
.long 0x7E2A14F9, 0x0006145C
.long 0x7E2E14F9, 0x0006145D
	;; [unrolled: 9-line block ×3, first 2 shown]
.long 0xBF8CC07F
.long 0xBF8A0000
.long 0xD3CD8000, 0x0402292E
.long 0xBF8C8F77
.long 0x7EB8ACF9, 0x00040691
.long 0x7E3014F9, 0x0006155C
.long 0x7E3414F9, 0x0006155D
.long 0xBF8C8F76
.long 0x7EB8ACF9, 0x00040692
.long 0x7E3214F9, 0x0006145C
.long 0x7E3614F9, 0x0006145D
.long 0xD3CD8004, 0x04122D2E
.long 0xBF8C8F75
.long 0x7EB8ACF9, 0x00040693
.long 0x7E3214F9, 0x0006155C
.long 0x7E3614F9, 0x0006155D
.long 0xBF8C8F74
.long 0x7EB8ACF9, 0x00040694
.long 0x7E3814F9, 0x0006145C
.long 0x7E3C14F9, 0x0006145D
	;; [unrolled: 9-line block ×3, first 2 shown]
.long 0xD3CD8004, 0x04123530
.long 0xBF8C8F71
.long 0x7EB8ACF9, 0x00040697
.long 0x7E3A14F9, 0x0006155C
	;; [unrolled: 1-line block ×3, first 2 shown]
.long 0xBF8C8F70
.long 0xD9BE0000, 0x00005835
.long 0xBF8C4F7F
.long 0x7EB8ACF9, 0x00040638
.long 0x7E0014F9, 0x0006145C
	;; [unrolled: 1-line block ×3, first 2 shown]
.long 0xBF8CC07F
.long 0xBF8A0000
.long 0xD3CD8000, 0x04023932
.long 0xD9FE0000, 0x24000034
.long 0xBF8C4F7E
.long 0x7EB8ACF9, 0x00040639
.long 0x7E0014F9, 0x0006155C
	;; [unrolled: 1-line block ×4, first 2 shown]
.long 0xBF8C4F7D
.long 0x7EB8ACF9, 0x0004063A
.long 0x7E0214F9, 0x0006145C
.long 0x7E0614F9, 0x0006145D
.long 0xBF8C4F7C
.long 0x7EB8ACF9, 0x0004063B
.long 0x7E0214F9, 0x0006155C
.long 0x7E0614F9, 0x0006155D
	;; [unrolled: 4-line block ×8, first 2 shown]
.long 0xBF06812E
.long 0xBF840000
	;; [unrolled: 1-line block ×3, first 2 shown]
.long 0x7EB8ACF9, 0x00040642
.long 0x7E1214F9, 0x0006145C
	;; [unrolled: 1-line block ×3, first 2 shown]
.long 0xBF8CC07F
.long 0xD3CD8000, 0x04020124
.long 0xD9FE0040, 0x28000034
.long 0xBF8C4F74
.long 0x7EB8ACF9, 0x00040643
.long 0x7E1214F9, 0x0006155C
	;; [unrolled: 1-line block ×6, first 2 shown]
.long 0xBF8C4F73
.long 0x7EB8ACF9, 0x00040644
.long 0x7E1814F9, 0x0006145C
	;; [unrolled: 1-line block ×4, first 2 shown]
.long 0xBF8C4F72
.long 0x7EB8ACF9, 0x00040645
.long 0x7E1814F9, 0x0006155C
	;; [unrolled: 1-line block ×3, first 2 shown]
.long 0xBF8CC17F
.long 0xD3CD8000, 0x04021128
.long 0xD9FE00C0, 0x30000034
.long 0xBF8C4F71
.long 0x7EB8ACF9, 0x00040646
.long 0x7E1A14F9, 0x0006145C
.long 0x7E1E14F9, 0x0006145D
.long 0xBF8C4F70
.long 0x7EB8ACF9, 0x00040647
.long 0x7E1A14F9, 0x0006155C
.long 0x7E1E14F9, 0x0006155D
.long 0xD3CD8004, 0x04121528
.long 0xBF8C0F7F
.long 0x7EB8ACF9, 0x00040648
.long 0x7E2014F9, 0x0006145C
.long 0x7E2414F9, 0x0006145D
.long 0xBF8C0F7E
.long 0x7EB8ACF9, 0x00040649
.long 0x7E2014F9, 0x0006155C
	;; [unrolled: 9-line block ×4, first 2 shown]
.long 0x7E2C14F9, 0x0006155D
.long 0xBF8CC17F
.long 0xD3CD8000, 0x0402212C
.long 0xBF8C0F79
.long 0x7EB8ACF9, 0x0004064E
.long 0x7E2A14F9, 0x0006145C
.long 0x7E2E14F9, 0x0006145D
.long 0xBF8C0F78
.long 0x7EB8ACF9, 0x0004064F
.long 0x7E2A14F9, 0x0006155C
.long 0x7E2E14F9, 0x0006155D
.long 0xD3CD8004, 0x0412252C
.long 0xBF8C0F77
.long 0x7EB8ACF9, 0x00040650
.long 0x7E3014F9, 0x0006145C
	;; [unrolled: 1-line block ×3, first 2 shown]
.long 0xBF8C0F76
.long 0x7EB8ACF9, 0x00040651
.long 0x7E3014F9, 0x0006155C
	;; [unrolled: 1-line block ×3, first 2 shown]
.long 0xBF8CC07F
.long 0xBF8A0000
.long 0xD3CD8000, 0x0402292E
.long 0xBF8C0F75
.long 0x7EB8ACF9, 0x00040652
.long 0x7E3214F9, 0x0006145C
.long 0x7E3614F9, 0x0006145D
.long 0xBF8C0F74
.long 0x7EB8ACF9, 0x00040653
.long 0x7E3214F9, 0x0006155C
.long 0x7E3614F9, 0x0006155D
.long 0xD3CD8004, 0x04122D2E
.long 0xBF8C0F73
.long 0x7EB8ACF9, 0x00040654
.long 0x7E3814F9, 0x0006145C
.long 0x7E3C14F9, 0x0006145D
.long 0xBF8C0F72
.long 0x7EB8ACF9, 0x00040655
.long 0x7E3814F9, 0x0006155C
.long 0x7E3C14F9, 0x0006155D
	;; [unrolled: 9-line block ×3, first 2 shown]
.long 0xD3CD8004, 0x04123530
.long 0xD3CD8000, 0x04023932
	;; [unrolled: 1-line block ×4, first 2 shown]
.long 0xBF070706
.long 0xBE8A0280
.long 0xBF06800A
.long 0xBE8B0080
.long 0xBF85011A
.long 0x81E23A83
.long 0x96E33F62
.long 0x92623F62
.long 0x80E23B62
.long 0x82E33C63
.long 0x80306230
.long 0x82316331
.long 0x80966216
.long 0x82976317
.long 0xBF068017
.long 0x8532C116
.long 0x81E23A83
.long 0x96E34062
.long 0x92624062
.long 0x80E23D62
.long 0x82E33E63
.long 0x80346234
.long 0x82356335
.long 0x80B86238
.long 0x82B96339
.long 0xBF068039
.long 0x8536C138
.long 0x2602BCBF
.long 0x2600028F
.long 0x24000081
.long 0x20020284
.long 0xD2850001, 0x00020284
.long 0xD2850001, 0x00020228
.long 0x68000101
.long 0x2002BC86
	;; [unrolled: 1-line block ×22, first 2 shown]
.long 0x9253FF28, 0x00000041
.long 0x9254FF28, 0x00000042
	;; [unrolled: 1-line block ×51, first 2 shown]
.long 0xBF8C0F70
.long 0xBF8A0000
.long 0xD9BE0000, 0x00005835
.long 0x2602BCBF
.long 0x2600028F
	;; [unrolled: 1-line block ×27, first 2 shown]
.long 0xBE8500FF, 0x00000080
.long 0xD2850002, 0x00020405
.long 0x2000BC88
.long 0xBE850090
.long 0xD2850000, 0x00020005
.long 0xD1FE0034, 0x02060300
.long 0x20046888
.long 0x24040485
	;; [unrolled: 1-line block ×5, first 2 shown]
.long 0xD8EC0000, 0x24000034
.long 0xBE8500A0
.long 0x32686805
.long 0x7EB8ACF9, 0x00040638
.long 0x7E0014F9, 0x0006145C
	;; [unrolled: 1-line block ×12, first 2 shown]
.long 0xBF8CC07F
.long 0x2640BCBF
	;; [unrolled: 1-line block ×4, first 2 shown]
.long 0xD0C60062, 0x00001520
.long 0xD1000024, 0x01890124
	;; [unrolled: 1-line block ×5, first 2 shown]
.long 0x7E70033C
.long 0x7E72033D
.long 0xD3CD8000, 0x04020124
.long 0xD1000002, 0x01890102
	;; [unrolled: 1-line block ×3, first 2 shown]
.long 0x7E74033E
.long 0x7E76033F
.long 0xD3CD8004, 0x04120524
.long 0x7E780340
.long 0x7E7A0341
.long 0x7E7C0342
.long 0x7E7E0343
.long 0x7E800344
.long 0x7E820345
.long 0x7E840346
.long 0x7E860347
.long 0x7E880348
.long 0x7E8A0349
.long 0x7E8C034A
.long 0x7E8E034B
.long 0x7E90034C
.long 0x7E92034D
.long 0x7E94034E
.long 0x7E96034F
.long 0x7E980350
.long 0x7E9A0351
.long 0x7E9C0352
.long 0x7E9E0353
.long 0x7EA00354
.long 0x7EA20355
.long 0x7EA40356
.long 0x7EA60357
.long 0x818A900A
.long 0x800B900B
.long 0xBF05800A
.long 0xBF84FFAE
.long 0xBF06812E
.long 0xBF840006
.long 0xC00E0C00, 0x0000005C
.long 0xC00A0E00, 0x0000007C
	;; [unrolled: 1-line block ×3, first 2 shown]
.long 0x2008BC86
.long 0x200A0882
.long 0xD2850005, 0x00020A90
.long 0x2602BCBF
.long 0x20020284
	;; [unrolled: 1-line block ×3, first 2 shown]
.long 0xD1FE0001, 0x02020305
.long 0xD2850002, 0x00004D01
	;; [unrolled: 1-line block ×3, first 2 shown]
.long 0x26000883
.long 0xD2850000, 0x00020090
.long 0x260ABC8F
.long 0xD1FE0000, 0x02060105
.long 0x920502FF, 0x00000080
.long 0x68000005
.long 0x92050390
	;; [unrolled: 1-line block ×6, first 2 shown]
.long 0x864818FF, 0x0000007F
.long 0x804914C1
.long 0xBF094902
	;; [unrolled: 1-line block ×11, first 2 shown]
.long 0xD1FE0006, 0x020A0103
.long 0xD3D84008, 0x18000100
	;; [unrolled: 1-line block ×9, first 2 shown]
.long 0xBF800001
.long 0xE0741000, 0x80030806
.long 0x8E3E8224
.long 0x800C3E0C
.long 0x820D800D
.long 0xE0741000, 0x80030A06
.long 0x8E3E8224
.long 0x800C3E0C
	;; [unrolled: 4-line block ×4, first 2 shown]
.long 0x7E2402FF, 0x80000000
.long 0xD0C90048, 0x00003100
.long 0xD0C9004C, 0x00003301
.long 0x86CC4C48
.long 0xD1FE0006, 0x020A0103
.long 0xD1000006, 0x01320D12
.long 0xD1196A01, 0x00010301
.long 0xD1340002, 0x00004D02
.long 0xD1340003, 0x00004903
.long 0xD0C90048, 0x00003100
.long 0xD0C9004C, 0x00003301
.long 0x86CC4C48
.long 0xD1FE0007, 0x020A0103
.long 0xD1000007, 0x01320F12
.long 0xD1196A01, 0x00010301
.long 0xD1340002, 0x00004D02
	;; [unrolled: 8-line block ×4, first 2 shown]
.long 0xD3D8400A, 0x18000101
.long 0xD3D8400B, 0x18000105
.long 0xD3D8400E, 0x18000102
.long 0xD3D8400F, 0x18000106
.long 0xD3D84010, 0x18000103
.long 0xD3D84011, 0x18000107
.long 0xBF800001
.long 0xE0741000, 0x80030806
.long 0xE0741000, 0x80030A07
.long 0xE0741000, 0x80030E0C
.long 0xE0741000, 0x8003100D
.long 0xBF800000
.long 0xBF820000
	;; [unrolled: 1-line block ×3, first 2 shown]
.long 0x814A84FF, 0x00001044
.long 0x80484A48
.long 0x82498049
	;; [unrolled: 1-line block ×6, first 2 shown]
.long 0xC0020158, 0x00000000
.long 0xBEAF00F2
.long 0xBF128032
	;; [unrolled: 1-line block ×3, first 2 shown]
.long 0xC0020BD9, 0x00000000
.long 0xBEC00034
.long 0xBEC10035
.long 0xBEC300FF, 0x00020000
.long 0xBF128034
.long 0xBF840002
	;; [unrolled: 1-line block ×12, first 2 shown]
.long 0xBEC700FF, 0x00020000
.long 0xBF128036
.long 0xBF840002
	;; [unrolled: 1-line block ×8, first 2 shown]
.long 0x923D02FF, 0x00000080
.long 0x6810BC3D
.long 0x923D0439
	;; [unrolled: 1-line block ×4, first 2 shown]
.long 0xE0501000, 0x80110408
.long 0x2410BC82
.long 0xBF8C0F70
.long 0xBF8A0000
.long 0xD81A0000, 0x00000408
.long 0xBF820012
.long 0xB4B80004
.long 0xBF850010
.long 0x92464682
.long 0x923D02FF, 0x00000080
.long 0x6810BC3D
	;; [unrolled: 5-line block ×4, first 2 shown]
.long 0x7E08022C
.long 0xBF8CC07F
.long 0xD1050004, 0x00000B04
.long 0xD1050004, 0x00005F04
.long 0xBF800000
.long 0x7E580504
	;; [unrolled: 1-line block ×19, first 2 shown]
.long 0x810584FF, 0x00000CA0
.long 0x803E053E
.long 0x823F803F
.long 0xBF820030
.long 0xBEBE1C00
.long 0x810584FF, 0x00000C8C
.long 0x803E053E
.long 0x823F803F
.long 0xBF82002A
.long 0xBEBE1C00
	;; [unrolled: 5-line block ×9, first 2 shown]
.long 0xBF840152
.long 0x864A18FF, 0x0000007F
.long 0x804B14C1
.long 0xBF094B02
	;; [unrolled: 1-line block ×11, first 2 shown]
.long 0x924A02FF, 0x00000080
.long 0xD1350009, 0x00009500
.long 0x24121282
.long 0xBF8CC07F
	;; [unrolled: 1-line block ×3, first 2 shown]
.long 0xD8EC0000, 0x0C000009
.long 0x24140082
.long 0xE0541000, 0x80100E0A
.long 0xD1FE0007, 0x02060103
	;; [unrolled: 1-line block ×10, first 2 shown]
.long 0xBF800001
.long 0x0A20202C
	;; [unrolled: 1-line block ×10, first 2 shown]
.long 0xD0CC0034, 0x00010042
.long 0xD100000E, 0x00D21CF2
	;; [unrolled: 1-line block ×5, first 2 shown]
.long 0xBEC81E3E
.long 0x7E200304
	;; [unrolled: 1-line block ×5, first 2 shown]
.long 0xD2A00010, 0x00022310
.long 0xE0701000, 0x80031007
	;; [unrolled: 1-line block ×7, first 2 shown]
.long 0xBEC81E3E
.long 0x7E240304
	;; [unrolled: 1-line block ×5, first 2 shown]
.long 0xD2A00012, 0x00022712
.long 0x8E4A8124
.long 0x800C4A0C
	;; [unrolled: 1-line block ×3, first 2 shown]
.long 0xE0701000, 0x80031207
.long 0xD0CC0034, 0x00010042
	;; [unrolled: 1-line block ×6, first 2 shown]
.long 0xBEC81E3E
.long 0x7E280304
	;; [unrolled: 1-line block ×5, first 2 shown]
.long 0xD2A00014, 0x00022B14
.long 0x8E4A8124
.long 0x800C4A0C
	;; [unrolled: 1-line block ×3, first 2 shown]
.long 0xE0701000, 0x80031407
.long 0xD0CC0034, 0x00010042
	;; [unrolled: 1-line block ×6, first 2 shown]
.long 0xBEC81E3E
.long 0x7E2C0304
	;; [unrolled: 1-line block ×5, first 2 shown]
.long 0xD2A00016, 0x00022F16
.long 0x8E4A8124
.long 0x800C4A0C
	;; [unrolled: 1-line block ×3, first 2 shown]
.long 0xE0701000, 0x80031607
.long 0xBF800000
.long 0xBF8202ED
.long 0x7E3A02FF, 0x80000000
.long 0xD0C9004A, 0x00003100
	;; [unrolled: 1-line block ×3, first 2 shown]
.long 0x86CE4E4A
.long 0x924A02FF, 0x00000080
.long 0xD1350008, 0x00009500
.long 0x24101082
.long 0xD1000008, 0x013A111D
.long 0xBF8CC07F
.long 0xBF8A0000
.long 0xD8EC0000, 0x0A000008
.long 0x24120082
.long 0xE0541000, 0x80100C09
.long 0xD1FE0007, 0x02060103
	;; [unrolled: 1-line block ×8, first 2 shown]
.long 0x86CE4E4A
.long 0x924A02FF, 0x00000080
.long 0xD1350011, 0x00009500
.long 0x24222282
.long 0xD1000011, 0x013A231D
.long 0x24240082
.long 0xD1FE0010, 0x02060103
.long 0xD1000010, 0x013A211D
.long 0xD1196A01, 0x00010301
.long 0xD1340002, 0x00004D02
.long 0xD1340003, 0x00004903
.long 0xD0C9004A, 0x00003100
.long 0xD0C9004E, 0x00003301
.long 0x86CE4E4A
.long 0x924A02FF, 0x00000080
.long 0xD1350016, 0x00009500
.long 0x242C2C82
.long 0xD1000016, 0x013A2D1D
.long 0x242E0082
.long 0xD1FE0013, 0x02060103
.long 0xD1000013, 0x013A271D
.long 0xD1196A01, 0x00010301
.long 0xD1340002, 0x00004D02
.long 0xD1340003, 0x00004903
.long 0xD0C9004A, 0x00003100
.long 0xD0C9004E, 0x00003301
	;; [unrolled: 13-line block ×3, first 2 shown]
.long 0xD3D84019, 0x18000106
.long 0xD3D8401E, 0x18000103
	;; [unrolled: 1-line block ×3, first 2 shown]
.long 0xBF800001
.long 0x0A1C1C2C
	;; [unrolled: 1-line block ×10, first 2 shown]
.long 0xD0CC0034, 0x00010042
.long 0xD100000C, 0x00D218F2
.long 0xD100000D, 0x00D21AF2
.long 0xD3B1400E, 0x18021D0C
.long 0xD3B24004, 0x18021D0A
.long 0xBEC81E3E
.long 0x7E1C0304
.long 0x7E1E0305
.long 0x7E1C150E
.long 0x7E1E150F
.long 0xD2A0000E, 0x00021F0E
.long 0xE0701000, 0x80030E07
.long 0xD0CC0034, 0x00010042
.long 0xD100000C, 0x00D218F2
.long 0xD100000D, 0x00D21AF2
.long 0xD3B14014, 0x1802290C
.long 0xD3B24004, 0x1802290A
.long 0xBEC81E3E
.long 0x7E280304
.long 0x7E2A0305
.long 0x7E281514
.long 0x7E2A1515
.long 0xD2A00014, 0x00022B14
.long 0xE0701000, 0x80031410
	;; [unrolled: 12-line block ×4, first 2 shown]
.long 0xBF800000
.long 0xBF820227
.long 0x864A18FF, 0x0000007F
.long 0x804B14C1
.long 0xBF094B02
	;; [unrolled: 1-line block ×11, first 2 shown]
.long 0xD1FE0008, 0x02060102
.long 0xE0501000, 0x80040B08
	;; [unrolled: 1-line block ×4, first 2 shown]
.long 0x24121282
.long 0xBF8CC07F
	;; [unrolled: 1-line block ×3, first 2 shown]
.long 0xD8EC0000, 0x0C000009
.long 0x24140082
.long 0xE0541000, 0x80100E0A
.long 0x8E4A8126
.long 0x80104A10
.long 0x82118011
.long 0xE0501000, 0x80041208
.long 0x8E4A8126
.long 0x80104A10
	;; [unrolled: 4-line block ×3, first 2 shown]
.long 0x82118011
.long 0xE0501000, 0x80041808
.long 0xD1FE0007, 0x02060103
	;; [unrolled: 1-line block ×10, first 2 shown]
.long 0xBF800001
.long 0x0A20202C
	;; [unrolled: 1-line block ×10, first 2 shown]
.long 0xD0CC0034, 0x00010042
.long 0xD100000E, 0x00D21CF2
	;; [unrolled: 1-line block ×7, first 2 shown]
.long 0xBEC81E3E
.long 0x7E200304
	;; [unrolled: 1-line block ×5, first 2 shown]
.long 0xD2A00010, 0x00022310
.long 0xE0701000, 0x80031007
.long 0xBF8C0F73
.long 0xD0CC0034, 0x00010042
.long 0xD100000E, 0x00D21CF2
.long 0xD100000F, 0x00D21EF2
.long 0xD3B14014, 0x1802290E
.long 0xD3A00014, 0x1452242D
.long 0xD3A01015, 0x1456242D
.long 0xD3B24004, 0x1802290C
.long 0xBEC81E3E
.long 0x7E280304
.long 0x7E2A0305
.long 0x7E281514
.long 0x7E2A1515
.long 0xD2A00014, 0x00022B14
.long 0x8E4A8124
.long 0x800C4A0C
.long 0x820D800D
.long 0xE0701000, 0x80031407
.long 0xBF8C0F73
.long 0xD0CC0034, 0x00010042
.long 0xD100000E, 0x00D21CF2
.long 0xD100000F, 0x00D21EF2
.long 0xD3B14016, 0x18022D0E
.long 0xD3A00016, 0x145A262D
.long 0xD3A01017, 0x145E262D
.long 0xD3B24004, 0x18022D0C
.long 0xBEC81E3E
.long 0x7E2C0304
.long 0x7E2E0305
.long 0x7E2C1516
.long 0x7E2E1517
.long 0xD2A00016, 0x00022F16
.long 0x8E4A8124
.long 0x800C4A0C
.long 0x820D800D
	;; [unrolled: 18-line block ×3, first 2 shown]
.long 0xE0701000, 0x80031A07
.long 0xBF800000
.long 0xBF820175
.long 0x7E4202FF, 0x80000000
.long 0xD0C9004A, 0x00003100
	;; [unrolled: 1-line block ×3, first 2 shown]
.long 0x86CE4E4A
.long 0xD1FE0007, 0x02060102
.long 0xD1000007, 0x013A0F21
	;; [unrolled: 1-line block ×5, first 2 shown]
.long 0x24101082
.long 0xD1000008, 0x013A1121
.long 0xBF8CC07F
.long 0xBF8A0000
.long 0xD8EC0000, 0x0C000008
.long 0x24120082
.long 0xE0541000, 0x80100E09
.long 0xD1FE0007, 0x02060103
	;; [unrolled: 1-line block ×8, first 2 shown]
.long 0x86CE4E4A
.long 0xD1FE000B, 0x02060102
.long 0xD100000B, 0x013A1721
.long 0xE0501000, 0x8004140B
.long 0x924A02FF, 0x00000080
.long 0xD1350012, 0x00009500
.long 0x24242482
.long 0xD1000012, 0x013A2521
.long 0x24260082
.long 0xD1FE000B, 0x02060103
.long 0xD100000B, 0x013A1721
.long 0xD1196A01, 0x00010301
.long 0xD1340002, 0x00004D02
.long 0xD1340003, 0x00004903
.long 0xD0C9004A, 0x00003100
.long 0xD0C9004E, 0x00003301
.long 0x86CE4E4A
.long 0xD1FE0015, 0x02060102
.long 0xD1000015, 0x013A2B21
.long 0xE0501000, 0x80041A15
.long 0x924A02FF, 0x00000080
.long 0xD1350018, 0x00009500
.long 0x24303082
.long 0xD1000018, 0x013A3121
.long 0x24320082
.long 0xD1FE0015, 0x02060103
.long 0xD1000015, 0x013A2B21
.long 0xD1196A01, 0x00010301
.long 0xD1340002, 0x00004D02
.long 0xD1340003, 0x00004903
.long 0xD0C9004A, 0x00003100
.long 0xD0C9004E, 0x00003301
	;; [unrolled: 16-line block ×3, first 2 shown]
.long 0xD3D8401D, 0x18000106
.long 0xD3D84022, 0x18000103
	;; [unrolled: 1-line block ×3, first 2 shown]
.long 0xBF800001
.long 0x0A20202C
	;; [unrolled: 1-line block ×10, first 2 shown]
.long 0xD0CC0034, 0x00010042
.long 0xD100000E, 0x00D21CF2
.long 0xD100000F, 0x00D21EF2
.long 0xD3B14010, 0x1802210E
.long 0xD3A00010, 0x1442142D
.long 0xD3A01011, 0x1446142D
.long 0xD3B24004, 0x1802210C
.long 0xBEC81E3E
.long 0x7E200304
.long 0x7E220305
.long 0x7E201510
.long 0x7E221511
.long 0xD2A00010, 0x00022310
.long 0xE0701000, 0x80031007
.long 0xD0CC0034, 0x00010042
.long 0xD100000E, 0x00D21CF2
.long 0xD100000F, 0x00D21EF2
.long 0xD3B14016, 0x18022D0E
.long 0xD3A00016, 0x145A282D
.long 0xD3A01017, 0x145E282D
.long 0xD3B24004, 0x18022D0C
.long 0xBEC81E3E
.long 0x7E2C0304
.long 0x7E2E0305
.long 0x7E2C1516
.long 0x7E2E1517
.long 0xD2A00016, 0x00022F16
.long 0xE0701000, 0x8003160B
	;; [unrolled: 14-line block ×4, first 2 shown]
.long 0xBF800000
.long 0xBF820087
	;; [unrolled: 1-line block ×3, first 2 shown]
.long 0x260808FF, 0x7FFFFFFF
.long 0x260A0AFF, 0x7FFFFFFF
.long 0xBE801D48
.long 0xD044006A, 0x00007504
.long 0x1408083B
.long 0x00080880
.long 0xD044006A, 0x00007505
.long 0x140A0A3B
.long 0x000A0A80
	;; [unrolled: 1-line block ×3, first 2 shown]
.long 0x0A0C08FF, 0x3D372713
.long 0xD1CB0006, 0x03CA0D04
.long 0x0A0C0D04
.long 0x0A0C0CFF, 0x40135761
.long 0x7E0C4106
.long 0xBF800000
	;; [unrolled: 1-line block ×5, first 2 shown]
.long 0xD1CB0006, 0x03D20CF5
.long 0x0A0C0D04
.long 0x0A080CF0
.long 0x0A0C0AFF, 0x3D372713
.long 0xD1CB0006, 0x03CA0D05
.long 0x0A0C0D05
.long 0x0A0C0CFF, 0x40135761
.long 0x7E0C4106
.long 0xBF800000
	;; [unrolled: 1-line block ×5, first 2 shown]
.long 0xD1CB0006, 0x03D20CF5
.long 0x0A0C0D05
.long 0x0A0A0CF0
	;; [unrolled: 1-line block ×4, first 2 shown]
.long 0xD046006A, 0x00010104
.long 0x00080906
.long 0x0A0C0A3A
.long 0xD046006A, 0x00010105
.long 0x000A0B06
.long 0xBE801D48
.long 0xD10B0004, 0x00010104
.long 0xD10B0005, 0x00010105
.long 0xBE801D48
.long 0x0A0808FF, 0xBFB8AA3B
.long 0x7E084104
.long 0xBF800000
	;; [unrolled: 1-line block ×5, first 2 shown]
.long 0x0A0A0AFF, 0xBFB8AA3B
.long 0x7E0A4105
.long 0xBF800000
	;; [unrolled: 1-line block ×7, first 2 shown]
.long 0x0A0808FF, 0x4038AA3B
.long 0x7E084104
.long 0xBF800000
	;; [unrolled: 1-line block ×5, first 2 shown]
.long 0xD1CB0004, 0x03CA08F5
.long 0x0A08083B
.long 0x0A0A0A3A
.long 0x0A0A0AFF, 0x4038AA3B
.long 0x7E0A4105
.long 0xBF800000
	;; [unrolled: 1-line block ×5, first 2 shown]
.long 0xD1CB0005, 0x03CA0AF5
.long 0x0A0A0A3B
.long 0xBE801D48
.long 0x0A0C08FF, 0x3D372713
.long 0xD1CB0006, 0x03CA0D04
.long 0x0A0C0D04
.long 0x0A0C0CFF, 0x40135761
.long 0x7E0C4106
.long 0xBF800000
	;; [unrolled: 1-line block ×5, first 2 shown]
.long 0xD1CB0006, 0x03D20CF5
.long 0x0A0C0D04
.long 0x0A0C0CF0
	;; [unrolled: 1-line block ×3, first 2 shown]
.long 0x0A0C0AFF, 0x3D372713
.long 0xD1CB0006, 0x03CA0D05
.long 0x0A0C0D05
.long 0x0A0C0CFF, 0x40135761
.long 0x7E0C4106
.long 0xBF800000
	;; [unrolled: 1-line block ×5, first 2 shown]
.long 0xD1CB0006, 0x03D20CF5
.long 0x0A0C0D05
.long 0x0A0C0CF0
	;; [unrolled: 1-line block ×5, first 2 shown]
